;; amdgpu-corpus repo=ROCm/rocFFT kind=compiled arch=gfx950 opt=O3
	.text
	.amdgcn_target "amdgcn-amd-amdhsa--gfx950"
	.amdhsa_code_object_version 6
	.protected	fft_rtc_fwd_len264_factors_8_3_11_wgs_231_tpt_33_sp_ip_CI_unitstride_sbrr_R2C_dirReg ; -- Begin function fft_rtc_fwd_len264_factors_8_3_11_wgs_231_tpt_33_sp_ip_CI_unitstride_sbrr_R2C_dirReg
	.globl	fft_rtc_fwd_len264_factors_8_3_11_wgs_231_tpt_33_sp_ip_CI_unitstride_sbrr_R2C_dirReg
	.p2align	8
	.type	fft_rtc_fwd_len264_factors_8_3_11_wgs_231_tpt_33_sp_ip_CI_unitstride_sbrr_R2C_dirReg,@function
fft_rtc_fwd_len264_factors_8_3_11_wgs_231_tpt_33_sp_ip_CI_unitstride_sbrr_R2C_dirReg: ; @fft_rtc_fwd_len264_factors_8_3_11_wgs_231_tpt_33_sp_ip_CI_unitstride_sbrr_R2C_dirReg
; %bb.0:
	s_load_dwordx2 s[8:9], s[0:1], 0x50
	s_load_dwordx4 s[4:7], s[0:1], 0x0
	s_load_dwordx2 s[10:11], s[0:1], 0x18
	v_mul_u32_u24_e32 v1, 0x7c2, v0
	v_lshrrev_b32_e32 v2, 16, v1
	v_mad_u64_u32 v[2:3], s[2:3], s2, 7, v[2:3]
	v_mov_b32_e32 v6, 0
	v_mov_b32_e32 v3, v6
	s_waitcnt lgkmcnt(0)
	v_cmp_lt_u64_e64 s[2:3], s[6:7], 2
	s_and_b64 vcc, exec, s[2:3]
	v_mov_b64_e32 v[4:5], 0
	v_mov_b64_e32 v[10:11], v[2:3]
	s_cbranch_vccnz .LBB0_8
; %bb.1:
	s_load_dwordx2 s[2:3], s[0:1], 0x10
	s_add_u32 s12, s10, 8
	s_addc_u32 s13, s11, 0
	s_mov_b64 s[14:15], 1
	v_mov_b64_e32 v[4:5], 0
	s_waitcnt lgkmcnt(0)
	s_add_u32 s16, s2, 8
	s_addc_u32 s17, s3, 0
	v_mov_b64_e32 v[8:9], v[2:3]
.LBB0_2:                                ; =>This Inner Loop Header: Depth=1
	s_load_dwordx2 s[18:19], s[16:17], 0x0
                                        ; implicit-def: $vgpr10_vgpr11
	s_waitcnt lgkmcnt(0)
	v_or_b32_e32 v7, s19, v9
	v_cmp_ne_u64_e32 vcc, 0, v[6:7]
	s_and_saveexec_b64 s[2:3], vcc
	s_xor_b64 s[20:21], exec, s[2:3]
	s_cbranch_execz .LBB0_4
; %bb.3:                                ;   in Loop: Header=BB0_2 Depth=1
	v_cvt_f32_u32_e32 v1, s18
	v_cvt_f32_u32_e32 v3, s19
	s_sub_u32 s2, 0, s18
	s_subb_u32 s3, 0, s19
	v_fmac_f32_e32 v1, 0x4f800000, v3
	v_rcp_f32_e32 v1, v1
	s_nop 0
	v_mul_f32_e32 v1, 0x5f7ffffc, v1
	v_mul_f32_e32 v3, 0x2f800000, v1
	v_trunc_f32_e32 v3, v3
	v_fmac_f32_e32 v1, 0xcf800000, v3
	v_cvt_u32_f32_e32 v3, v3
	v_cvt_u32_f32_e32 v1, v1
	v_mul_lo_u32 v7, s2, v3
	v_mul_hi_u32 v10, s2, v1
	v_mul_lo_u32 v11, s3, v1
	v_add_u32_e32 v7, v10, v7
	v_mul_lo_u32 v14, s2, v1
	v_add_u32_e32 v7, v7, v11
	v_mul_hi_u32 v10, v1, v14
	v_mul_hi_u32 v13, v1, v7
	v_mul_lo_u32 v12, v1, v7
	v_mov_b32_e32 v11, v6
	v_lshl_add_u64 v[10:11], v[10:11], 0, v[12:13]
	v_mul_hi_u32 v13, v3, v14
	v_mul_lo_u32 v14, v3, v14
	v_add_co_u32_e32 v10, vcc, v10, v14
	v_mul_hi_u32 v12, v3, v7
	s_nop 0
	v_addc_co_u32_e32 v10, vcc, v11, v13, vcc
	v_mov_b32_e32 v11, v6
	s_nop 0
	v_addc_co_u32_e32 v13, vcc, 0, v12, vcc
	v_mul_lo_u32 v12, v3, v7
	v_lshl_add_u64 v[10:11], v[10:11], 0, v[12:13]
	v_add_co_u32_e32 v1, vcc, v1, v10
	v_mul_hi_u32 v10, s2, v1
	s_nop 0
	v_addc_co_u32_e32 v3, vcc, v3, v11, vcc
	v_mul_lo_u32 v7, s2, v3
	v_add_u32_e32 v7, v10, v7
	v_mul_lo_u32 v10, s3, v1
	v_add_u32_e32 v7, v7, v10
	v_mul_lo_u32 v12, s2, v1
	v_mul_hi_u32 v15, v3, v12
	v_mul_lo_u32 v16, v3, v12
	v_mul_hi_u32 v11, v1, v7
	;; [unrolled: 2-line block ×3, first 2 shown]
	v_mov_b32_e32 v13, v6
	v_lshl_add_u64 v[10:11], v[12:13], 0, v[10:11]
	v_add_co_u32_e32 v10, vcc, v10, v16
	v_mul_hi_u32 v14, v3, v7
	s_nop 0
	v_addc_co_u32_e32 v10, vcc, v11, v15, vcc
	v_mul_lo_u32 v12, v3, v7
	s_nop 0
	v_addc_co_u32_e32 v13, vcc, 0, v14, vcc
	v_mov_b32_e32 v11, v6
	v_lshl_add_u64 v[10:11], v[10:11], 0, v[12:13]
	v_add_co_u32_e32 v1, vcc, v1, v10
	v_mul_hi_u32 v12, v8, v1
	s_nop 0
	v_addc_co_u32_e32 v3, vcc, v3, v11, vcc
	v_mad_u64_u32 v[10:11], s[2:3], v8, v3, 0
	v_mov_b32_e32 v13, v6
	v_lshl_add_u64 v[10:11], v[12:13], 0, v[10:11]
	v_mad_u64_u32 v[14:15], s[2:3], v9, v1, 0
	v_add_co_u32_e32 v1, vcc, v10, v14
	v_mad_u64_u32 v[12:13], s[2:3], v9, v3, 0
	s_nop 0
	v_addc_co_u32_e32 v10, vcc, v11, v15, vcc
	v_mov_b32_e32 v11, v6
	s_nop 0
	v_addc_co_u32_e32 v13, vcc, 0, v13, vcc
	v_lshl_add_u64 v[10:11], v[10:11], 0, v[12:13]
	v_mul_lo_u32 v1, s19, v10
	v_mul_lo_u32 v3, s18, v11
	v_mad_u64_u32 v[12:13], s[2:3], s18, v10, 0
	v_add3_u32 v1, v13, v3, v1
	v_sub_u32_e32 v3, v9, v1
	v_mov_b32_e32 v7, s19
	v_sub_co_u32_e32 v16, vcc, v8, v12
	v_lshl_add_u64 v[14:15], v[10:11], 0, 1
	s_nop 0
	v_subb_co_u32_e64 v3, s[2:3], v3, v7, vcc
	v_subrev_co_u32_e64 v7, s[2:3], s18, v16
	v_subb_co_u32_e32 v1, vcc, v9, v1, vcc
	s_nop 0
	v_subbrev_co_u32_e64 v3, s[2:3], 0, v3, s[2:3]
	v_cmp_le_u32_e64 s[2:3], s19, v3
	v_cmp_le_u32_e32 vcc, s19, v1
	s_nop 0
	v_cndmask_b32_e64 v12, 0, -1, s[2:3]
	v_cmp_le_u32_e64 s[2:3], s18, v7
	s_nop 1
	v_cndmask_b32_e64 v7, 0, -1, s[2:3]
	v_cmp_eq_u32_e64 s[2:3], s19, v3
	s_nop 1
	v_cndmask_b32_e64 v3, v12, v7, s[2:3]
	v_lshl_add_u64 v[12:13], v[10:11], 0, 2
	v_cmp_ne_u32_e64 s[2:3], 0, v3
	v_cndmask_b32_e64 v7, 0, -1, vcc
	v_cmp_le_u32_e32 vcc, s18, v16
	v_cndmask_b32_e64 v3, v15, v13, s[2:3]
	s_nop 0
	v_cndmask_b32_e64 v13, 0, -1, vcc
	v_cmp_eq_u32_e32 vcc, s19, v1
	s_nop 1
	v_cndmask_b32_e32 v1, v7, v13, vcc
	v_cmp_ne_u32_e32 vcc, 0, v1
	v_cndmask_b32_e64 v1, v14, v12, s[2:3]
	s_nop 0
	v_cndmask_b32_e32 v11, v11, v3, vcc
	v_cndmask_b32_e32 v10, v10, v1, vcc
.LBB0_4:                                ;   in Loop: Header=BB0_2 Depth=1
	s_andn2_saveexec_b64 s[2:3], s[20:21]
	s_cbranch_execz .LBB0_6
; %bb.5:                                ;   in Loop: Header=BB0_2 Depth=1
	v_cvt_f32_u32_e32 v1, s18
	s_sub_i32 s20, 0, s18
	v_mov_b32_e32 v11, v6
	v_rcp_iflag_f32_e32 v1, v1
	s_nop 0
	v_mul_f32_e32 v1, 0x4f7ffffe, v1
	v_cvt_u32_f32_e32 v1, v1
	v_mul_lo_u32 v3, s20, v1
	v_mul_hi_u32 v3, v1, v3
	v_add_u32_e32 v1, v1, v3
	v_mul_hi_u32 v1, v8, v1
	v_mul_lo_u32 v3, v1, s18
	v_sub_u32_e32 v3, v8, v3
	v_add_u32_e32 v7, 1, v1
	v_subrev_u32_e32 v10, s18, v3
	v_cmp_le_u32_e32 vcc, s18, v3
	s_nop 1
	v_cndmask_b32_e32 v3, v3, v10, vcc
	v_cndmask_b32_e32 v1, v1, v7, vcc
	v_add_u32_e32 v7, 1, v1
	v_cmp_le_u32_e32 vcc, s18, v3
	s_nop 1
	v_cndmask_b32_e32 v10, v1, v7, vcc
.LBB0_6:                                ;   in Loop: Header=BB0_2 Depth=1
	s_or_b64 exec, exec, s[2:3]
	v_mad_u64_u32 v[12:13], s[2:3], v10, s18, 0
	s_load_dwordx2 s[2:3], s[12:13], 0x0
	s_add_u32 s14, s14, 1
	v_mul_lo_u32 v1, v11, s18
	v_mul_lo_u32 v3, v10, s19
	s_addc_u32 s15, s15, 0
	v_add3_u32 v1, v13, v3, v1
	v_sub_co_u32_e32 v3, vcc, v8, v12
	s_add_u32 s12, s12, 8
	s_nop 0
	v_subb_co_u32_e32 v1, vcc, v9, v1, vcc
	s_addc_u32 s13, s13, 0
	v_mov_b64_e32 v[8:9], s[6:7]
	s_waitcnt lgkmcnt(0)
	v_mul_lo_u32 v1, s2, v1
	v_mul_lo_u32 v7, s3, v3
	v_mad_u64_u32 v[4:5], s[2:3], s2, v3, v[4:5]
	s_add_u32 s16, s16, 8
	v_cmp_ge_u64_e32 vcc, s[14:15], v[8:9]
	v_add3_u32 v5, v7, v5, v1
	s_addc_u32 s17, s17, 0
	s_cbranch_vccnz .LBB0_8
; %bb.7:                                ;   in Loop: Header=BB0_2 Depth=1
	v_mov_b64_e32 v[8:9], v[10:11]
	s_branch .LBB0_2
.LBB0_8:
	s_lshl_b64 s[2:3], s[6:7], 3
	s_add_u32 s2, s10, s2
	s_addc_u32 s3, s11, s3
	s_load_dwordx2 s[6:7], s[2:3], 0x0
	s_load_dwordx2 s[10:11], s[0:1], 0x20
	s_mov_b32 s2, 0x7c1f07d
                                        ; implicit-def: $vgpr20
	s_waitcnt lgkmcnt(0)
	v_mad_u64_u32 v[4:5], s[0:1], s6, v10, v[4:5]
	v_mul_lo_u32 v1, s6, v11
	v_mul_lo_u32 v3, s7, v10
	s_mov_b32 s0, 0x24924925
	v_add3_u32 v5, v3, v5, v1
	v_mul_hi_u32 v1, v2, s0
	v_sub_u32_e32 v3, v2, v1
	v_lshrrev_b32_e32 v3, 1, v3
	v_add_u32_e32 v1, v3, v1
	v_lshrrev_b32_e32 v1, 2, v1
	v_mul_lo_u32 v1, v1, 7
	v_sub_u32_e32 v1, v2, v1
	v_mul_hi_u32 v2, v0, s2
	v_mul_u32_u24_e32 v2, 33, v2
	v_sub_u32_e32 v16, v0, v2
	v_cmp_gt_u64_e32 vcc, s[10:11], v[10:11]
	v_cmp_le_u64_e64 s[0:1], s[10:11], v[10:11]
	v_add_u32_e32 v22, 33, v16
	s_and_saveexec_b64 s[2:3], s[0:1]
	s_xor_b64 s[0:1], exec, s[2:3]
; %bb.9:
	v_add_u32_e32 v22, 33, v16
	v_add_u32_e32 v20, 0x42, v16
; %bb.10:
	s_or_saveexec_b64 s[0:1], s[0:1]
	v_mul_u32_u24_e32 v0, 0x109, v1
	v_lshl_add_u64 v[18:19], v[4:5], 3, s[8:9]
	v_lshlrev_b32_e32 v23, 3, v0
	v_lshlrev_b32_e32 v21, 3, v16
	s_xor_b64 exec, exec, s[0:1]
	s_cbranch_execz .LBB0_12
; %bb.11:
	v_mov_b32_e32 v17, 0
	v_lshl_add_u64 v[0:1], v[16:17], 3, v[18:19]
	global_load_dwordx2 v[2:3], v[0:1], off
	global_load_dwordx2 v[4:5], v[0:1], off offset:264
	global_load_dwordx2 v[6:7], v[0:1], off offset:528
	;; [unrolled: 1-line block ×7, first 2 shown]
	v_add3_u32 v0, 0, v23, v21
	v_add_u32_e32 v20, 0x42, v16
	s_waitcnt vmcnt(6)
	ds_write2_b64 v0, v[2:3], v[4:5] offset1:33
	s_waitcnt vmcnt(4)
	ds_write2_b64 v0, v[6:7], v[8:9] offset0:66 offset1:99
	s_waitcnt vmcnt(2)
	ds_write2_b64 v0, v[10:11], v[12:13] offset0:132 offset1:165
	;; [unrolled: 2-line block ×3, first 2 shown]
.LBB0_12:
	s_or_b64 exec, exec, s[0:1]
	v_add_u32_e32 v65, 0, v23
	v_add3_u32 v17, 0, v21, v23
	s_waitcnt lgkmcnt(0)
	s_barrier
	v_add_u32_e32 v64, v65, v21
	ds_read2_b64 v[0:3], v17 offset0:99 offset1:132
	ds_read_b64 v[12:13], v64
	ds_read2_b64 v[4:7], v17 offset0:33 offset1:66
	ds_read2_b64 v[8:11], v17 offset0:165 offset1:198
	ds_read_b64 v[14:15], v17 offset:1848
	s_mov_b32 s0, 0x3f3504f3
	s_waitcnt lgkmcnt(3)
	v_pk_add_f32 v[24:25], v[12:13], v[2:3] neg_lo:[0,1] neg_hi:[0,1]
	s_waitcnt lgkmcnt(0)
	v_pk_add_f32 v[10:11], v[6:7], v[10:11] neg_lo:[0,1] neg_hi:[0,1]
	v_pk_fma_f32 v[26:27], v[12:13], 2.0, v[24:25] op_sel_hi:[1,0,1] neg_lo:[0,0,1] neg_hi:[0,0,1]
	v_pk_fma_f32 v[2:3], v[6:7], 2.0, v[10:11] op_sel_hi:[1,0,1] neg_lo:[0,0,1] neg_hi:[0,0,1]
	v_pk_add_f32 v[28:29], v[24:25], v[10:11] op_sel:[0,1] op_sel_hi:[1,0] neg_lo:[0,1] neg_hi:[0,1]
	v_pk_add_f32 v[10:11], v[24:25], v[10:11] op_sel:[0,1] op_sel_hi:[1,0]
	v_pk_add_f32 v[6:7], v[4:5], v[8:9] neg_lo:[0,1] neg_hi:[0,1]
	v_pk_add_f32 v[8:9], v[0:1], v[14:15] neg_lo:[0,1] neg_hi:[0,1]
	v_mov_b32_e32 v29, v11
	v_pk_fma_f32 v[0:1], v[0:1], 2.0, v[8:9] op_sel_hi:[1,0,1] neg_lo:[0,0,1] neg_hi:[0,0,1]
	v_pk_fma_f32 v[10:11], v[24:25], 2.0, v[28:29] op_sel_hi:[1,0,1] neg_lo:[0,0,1] neg_hi:[0,0,1]
	v_pk_add_f32 v[24:25], v[6:7], v[8:9] op_sel:[0,1] op_sel_hi:[1,0] neg_lo:[0,1] neg_hi:[0,1]
	v_pk_add_f32 v[8:9], v[6:7], v[8:9] op_sel:[0,1] op_sel_hi:[1,0]
	v_pk_fma_f32 v[4:5], v[4:5], 2.0, v[6:7] op_sel_hi:[1,0,1] neg_lo:[0,0,1] neg_hi:[0,0,1]
	v_mov_b32_e32 v25, v9
	v_pk_fma_f32 v[6:7], v[6:7], 2.0, v[24:25] op_sel_hi:[1,0,1] neg_lo:[0,0,1] neg_hi:[0,0,1]
	v_pk_add_f32 v[14:15], v[26:27], v[2:3] neg_lo:[0,1] neg_hi:[0,1]
	v_pk_add_f32 v[0:1], v[4:5], v[0:1] neg_lo:[0,1] neg_hi:[0,1]
	v_pk_mul_f32 v[8:9], v[6:7], s[0:1] op_sel_hi:[1,0]
	v_pk_fma_f32 v[6:7], v[6:7], s[0:1], v[10:11] op_sel_hi:[1,0,1] neg_lo:[1,0,0] neg_hi:[1,0,0]
	v_pk_add_f32 v[12:13], v[14:15], v[0:1] op_sel:[0,1] op_sel_hi:[1,0] neg_lo:[0,1] neg_hi:[0,1]
	v_pk_add_f32 v[2:3], v[14:15], v[0:1] op_sel:[0,1] op_sel_hi:[1,0]
	v_pk_fma_f32 v[26:27], v[26:27], 2.0, v[14:15] op_sel_hi:[1,0,1] neg_lo:[0,0,1] neg_hi:[0,0,1]
	v_pk_fma_f32 v[0:1], v[4:5], 2.0, v[0:1] op_sel_hi:[1,0,1] neg_lo:[0,0,1] neg_hi:[0,0,1]
	v_pk_add_f32 v[30:31], v[6:7], v[8:9] op_sel:[0,1] op_sel_hi:[1,0] neg_lo:[0,1] neg_hi:[0,1]
	v_pk_add_f32 v[6:7], v[6:7], v[8:9] op_sel:[0,1] op_sel_hi:[1,0]
	v_pk_add_f32 v[4:5], v[26:27], v[0:1] neg_lo:[0,1] neg_hi:[0,1]
	v_mov_b32_e32 v31, v7
	v_mad_u32_u24 v2, v16, 56, v17
	v_pk_fma_f32 v[0:1], v[26:27], 2.0, v[4:5] op_sel_hi:[1,0,1] neg_lo:[0,0,1] neg_hi:[0,0,1]
	v_pk_fma_f32 v[8:9], v[10:11], 2.0, v[30:31] op_sel_hi:[1,0,1] neg_lo:[0,0,1] neg_hi:[0,0,1]
	s_barrier
	ds_write2_b64 v2, v[0:1], v[8:9] offset1:1
	v_pk_mul_f32 v[0:1], v[24:25], s[0:1] op_sel_hi:[1,0]
	v_pk_fma_f32 v[10:11], v[24:25], s[0:1], v[28:29] op_sel_hi:[1,0,1]
	v_mov_b32_e32 v13, v3
	v_pk_add_f32 v[26:27], v[10:11], v[0:1] op_sel:[0,1] op_sel_hi:[1,0] neg_lo:[0,1] neg_hi:[0,1]
	v_pk_add_f32 v[0:1], v[10:11], v[0:1] op_sel:[0,1] op_sel_hi:[1,0]
	v_pk_fma_f32 v[8:9], v[14:15], 2.0, v[12:13] op_sel_hi:[1,0,1] neg_lo:[0,0,1] neg_hi:[0,0,1]
	v_mov_b32_e32 v27, v1
	v_pk_fma_f32 v[10:11], v[28:29], 2.0, v[26:27] op_sel_hi:[1,0,1] neg_lo:[0,0,1] neg_hi:[0,0,1]
	ds_write2_b64 v2, v[8:9], v[10:11] offset0:2 offset1:3
	ds_write2_b64 v2, v[4:5], v[30:31] offset0:4 offset1:5
	;; [unrolled: 1-line block ×3, first 2 shown]
	s_waitcnt lgkmcnt(0)
	s_barrier
	ds_read2_b64 v[4:7], v17 offset0:88 offset1:121
	ds_read2_b64 v[8:11], v17 offset0:176 offset1:209
	v_lshl_add_u32 v66, v22, 3, v65
	ds_read_b64 v[30:31], v64
	ds_read_b32 v24, v64 offset:4
	ds_read_b64 v[14:15], v66
	v_cmp_gt_u32_e64 s[0:1], 22, v16
                                        ; implicit-def: $vgpr28
	s_and_saveexec_b64 s[2:3], s[0:1]
	s_cbranch_execz .LBB0_14
; %bb.13:
	v_lshlrev_b32_e32 v12, 3, v20
	v_add3_u32 v12, 0, v12, v23
	ds_read2_b64 v[0:3], v17 offset0:154 offset1:242
	ds_read_b64 v[12:13], v12
	s_waitcnt lgkmcnt(1)
	v_mov_b32_e32 v28, v3
	v_mov_b32_e32 v26, v0
	s_waitcnt lgkmcnt(0)
	v_mov_b32_e32 v3, v13
.LBB0_14:
	s_or_b64 exec, exec, s[2:3]
	v_and_b32_e32 v27, 7, v16
	v_lshlrev_b32_e32 v0, 4, v27
	v_and_b32_e32 v32, 7, v20
	v_and_b32_e32 v29, 7, v22
	global_load_dwordx4 v[34:37], v0, s[4:5]
	v_lshlrev_b32_e32 v0, 4, v32
	global_load_dwordx4 v[38:41], v0, s[4:5]
	v_lshlrev_b32_e32 v0, 4, v29
	global_load_dwordx4 v[42:45], v0, s[4:5]
	v_mov_b32_e32 v13, v3
	v_lshrrev_b32_e32 v3, 3, v22
	s_waitcnt lgkmcnt(2)
	v_mov_b32_e32 v25, v30
	v_mov_b32_e32 v30, v1
	v_lshrrev_b32_e32 v1, 3, v16
	v_mul_lo_u32 v3, v3, 24
	v_mul_u32_u24_e32 v1, 24, v1
	v_or_b32_e32 v3, v3, v29
	v_or_b32_e32 v1, v1, v27
	v_lshlrev_b32_e32 v3, 3, v3
	v_mov_b32_e32 v0, v5
	v_mov_b32_e32 v46, v9
	v_lshlrev_b32_e32 v1, 3, v1
	v_add3_u32 v47, 0, v3, v23
	v_add3_u32 v33, 0, v1, v23
	s_mov_b32 s2, 0x3f5db3d7
	s_waitcnt lgkmcnt(0)
	s_barrier
	s_waitcnt vmcnt(2)
	v_pk_mul_f32 v[48:49], v[34:35], v[4:5] op_sel_hi:[1,0]
	v_pk_mul_f32 v[50:51], v[36:37], v[8:9] op_sel_hi:[1,0]
	s_waitcnt vmcnt(1)
	v_pk_mul_f32 v[30:31], v[30:31], v[38:39] op_sel_hi:[0,1]
	v_pk_mul_f32 v[28:29], v[28:29], v[40:41] op_sel_hi:[0,1]
	s_waitcnt vmcnt(0)
	v_pk_mul_f32 v[52:53], v[42:43], v[6:7] op_sel:[0,1]
	v_pk_mul_f32 v[54:55], v[44:45], v[10:11] op_sel:[0,1]
	v_pk_fma_f32 v[0:1], v[34:35], v[0:1], v[48:49] op_sel:[0,0,1] op_sel_hi:[1,1,0]
	v_pk_fma_f32 v[4:5], v[34:35], v[4:5], v[48:49] op_sel:[0,1,1] op_sel_hi:[1,1,0] neg_lo:[1,0,0] neg_hi:[1,0,0]
	v_pk_fma_f32 v[34:35], v[36:37], v[46:47], v[50:51] op_sel:[0,0,1] op_sel_hi:[1,1,0]
	v_pk_fma_f32 v[8:9], v[36:37], v[8:9], v[50:51] op_sel:[0,1,1] op_sel_hi:[1,1,0] neg_lo:[1,0,0] neg_hi:[1,0,0]
	v_pk_fma_f32 v[36:37], v[26:27], v[38:39], v[30:31] op_sel:[0,0,1] op_sel_hi:[1,1,0] neg_lo:[0,0,1] neg_hi:[0,0,1]
	v_pk_fma_f32 v[26:27], v[26:27], v[38:39], v[30:31] op_sel:[0,0,1] op_sel_hi:[0,1,0]
	v_pk_fma_f32 v[30:31], v[2:3], v[40:41], v[28:29] op_sel:[0,0,1] op_sel_hi:[1,1,0] neg_lo:[0,0,1] neg_hi:[0,0,1]
	v_pk_fma_f32 v[2:3], v[2:3], v[40:41], v[28:29] op_sel:[0,0,1] op_sel_hi:[0,1,0]
	v_pk_fma_f32 v[28:29], v[42:43], v[6:7], v[52:53] op_sel:[0,0,1] op_sel_hi:[1,1,0] neg_lo:[0,0,1] neg_hi:[0,0,1]
	v_pk_fma_f32 v[6:7], v[42:43], v[6:7], v[52:53] op_sel:[0,0,1] op_sel_hi:[1,0,0]
	v_pk_fma_f32 v[38:39], v[44:45], v[10:11], v[54:55] op_sel:[0,0,1] op_sel_hi:[1,1,0] neg_lo:[0,0,1] neg_hi:[0,0,1]
	v_pk_fma_f32 v[10:11], v[44:45], v[10:11], v[54:55] op_sel:[0,0,1] op_sel_hi:[1,0,0]
	v_mov_b32_e32 v1, v5
	v_mov_b32_e32 v35, v9
	;; [unrolled: 1-line block ×6, first 2 shown]
	v_pk_add_f32 v[2:3], v[0:1], v[34:35]
	v_pk_add_f32 v[4:5], v[0:1], v[34:35] neg_lo:[0,1] neg_hi:[0,1]
	v_pk_add_f32 v[0:1], v[0:1], v[24:25]
	v_pk_add_f32 v[6:7], v[12:13], v[36:37]
	;; [unrolled: 1-line block ×3, first 2 shown]
	v_pk_add_f32 v[10:11], v[36:37], v[30:31] neg_lo:[0,1] neg_hi:[0,1]
	v_pk_add_f32 v[26:27], v[14:15], v[28:29]
	v_pk_add_f32 v[36:37], v[28:29], v[38:39]
	v_pk_add_f32 v[28:29], v[28:29], v[38:39] neg_lo:[0,1] neg_hi:[0,1]
	v_pk_fma_f32 v[24:25], v[2:3], 0.5, v[24:25] op_sel_hi:[1,0,1] neg_lo:[1,0,0] neg_hi:[1,0,0]
	v_pk_mul_f32 v[40:41], v[4:5], s[2:3] op_sel_hi:[1,0]
	v_pk_add_f32 v[0:1], v[0:1], v[34:35]
	v_pk_add_f32 v[2:3], v[6:7], v[30:31]
	v_pk_fma_f32 v[6:7], v[8:9], 0.5, v[12:13] op_sel_hi:[1,0,1] neg_lo:[1,0,0] neg_hi:[1,0,0]
	v_pk_mul_f32 v[8:9], v[10:11], s[2:3] op_sel_hi:[1,0]
	v_pk_fma_f32 v[12:13], v[36:37], 0.5, v[14:15] op_sel_hi:[1,0,1] neg_lo:[1,0,0] neg_hi:[1,0,0]
	v_pk_mul_f32 v[14:15], v[28:29], s[2:3] op_sel_hi:[1,0]
	v_pk_add_f32 v[4:5], v[26:27], v[38:39]
	v_pk_add_f32 v[30:31], v[24:25], v[40:41] op_sel:[0,1] op_sel_hi:[1,0] neg_lo:[0,1] neg_hi:[0,1]
	v_pk_add_f32 v[28:29], v[24:25], v[40:41] op_sel:[0,1] op_sel_hi:[1,0]
	v_pk_add_f32 v[10:11], v[6:7], v[8:9] op_sel:[0,1] op_sel_hi:[1,0]
	v_pk_add_f32 v[26:27], v[6:7], v[8:9] op_sel:[0,1] op_sel_hi:[1,0] neg_lo:[0,1] neg_hi:[0,1]
	v_mov_b32_e32 v24, v1
	v_mov_b32_e32 v25, v0
	v_pk_add_f32 v[0:1], v[12:13], v[14:15] op_sel:[0,1] op_sel_hi:[1,0]
	v_pk_add_f32 v[8:9], v[12:13], v[14:15] op_sel:[0,1] op_sel_hi:[1,0] neg_lo:[0,1] neg_hi:[0,1]
	v_mov_b32_e32 v6, v30
	v_mov_b32_e32 v7, v29
	;; [unrolled: 1-line block ×10, first 2 shown]
	ds_write2_b64 v33, v[24:25], v[12:13] offset1:8
	ds_write_b64 v33, v[14:15] offset:128
	ds_write2_b64 v47, v[4:5], v[34:35] offset1:8
	ds_write_b64 v47, v[36:37] offset:128
	s_and_saveexec_b64 s[2:3], s[0:1]
	s_cbranch_execz .LBB0_16
; %bb.15:
	v_lshrrev_b32_e32 v12, 3, v20
	v_mul_lo_u32 v12, v12, 24
	v_or_b32_e32 v12, v12, v32
	v_lshlrev_b32_e32 v12, 3, v12
	v_add3_u32 v14, 0, v12, v23
	v_mov_b32_e32 v12, v10
	v_mov_b32_e32 v13, v27
	ds_write2_b64 v14, v[2:3], v[12:13] offset1:8
	v_mov_b32_e32 v12, v26
	v_mov_b32_e32 v13, v11
	ds_write_b64 v14, v[12:13] offset:128
.LBB0_16:
	s_or_b64 exec, exec, s[2:3]
	v_cmp_gt_u32_e64 s[0:1], 24, v16
	s_waitcnt lgkmcnt(0)
	s_barrier
	s_waitcnt lgkmcnt(0)
                                        ; implicit-def: $vgpr15
	s_and_saveexec_b64 s[2:3], s[0:1]
	s_cbranch_execz .LBB0_18
; %bb.17:
	ds_read_b64 v[24:25], v64
	ds_read2_b64 v[8:11], v17 offset0:168 offset1:192
	ds_read2_b64 v[32:35], v17 offset0:24 offset1:48
	;; [unrolled: 1-line block ×5, first 2 shown]
	s_waitcnt lgkmcnt(4)
	v_mov_b32_e32 v26, v10
	v_mov_b32_e32 v27, v9
	;; [unrolled: 1-line block ×3, first 2 shown]
	s_waitcnt lgkmcnt(1)
	v_mov_b32_e32 v8, v0
	v_mov_b32_e32 v9, v7
	;; [unrolled: 1-line block ×7, first 2 shown]
.LBB0_18:
	s_or_b64 exec, exec, s[2:3]
	s_waitcnt lgkmcnt(0)
	s_barrier
	s_and_saveexec_b64 s[2:3], s[0:1]
	s_cbranch_execz .LBB0_20
; %bb.19:
	v_subrev_u32_e32 v23, 24, v16
	v_cndmask_b32_e64 v23, v23, v16, s[0:1]
	v_mul_i32_i24_e32 v32, 10, v23
	v_mov_b32_e32 v33, 0
	v_lshl_add_u64 v[40:41], v[32:33], 3, s[4:5]
	global_load_dwordx4 v[32:35], v[40:41], off offset:192
	global_load_dwordx4 v[36:39], v[40:41], off offset:176
	;; [unrolled: 1-line block ×5, first 2 shown]
	v_mov_b32_e32 v30, v15
	v_mov_b32_e32 v46, v11
	;; [unrolled: 1-line block ×11, first 2 shown]
	s_mov_b32 s16, 0x3f575c64
	s_mov_b32 s17, 0xbf0a6770
	;; [unrolled: 1-line block ×32, first 2 shown]
	s_waitcnt vmcnt(4)
	v_pk_mul_f32 v[30:31], v[30:31], v[34:35] op_sel_hi:[0,1]
	s_waitcnt vmcnt(3)
	v_pk_mul_f32 v[46:47], v[46:47], v[38:39] op_sel_hi:[0,1]
	;; [unrolled: 2-line block ×3, first 2 shown]
	v_pk_mul_f32 v[62:63], v[62:63], v[52:53] op_sel_hi:[0,1]
	s_waitcnt vmcnt(0)
	v_pk_mul_f32 v[80:81], v[6:7], v[68:69]
	v_pk_mul_f32 v[76:77], v[40:41], v[32:33] op_sel_hi:[0,1]
	v_pk_mul_f32 v[78:79], v[42:43], v[36:37] op_sel_hi:[0,1]
	v_mov_b32_e32 v80, v69
	v_pk_fma_f32 v[40:41], v[14:15], v[34:35], v[30:31] op_sel:[0,0,1] op_sel_hi:[0,1,0] neg_lo:[0,0,1] neg_hi:[0,0,1]
	v_pk_fma_f32 v[42:43], v[14:15], v[34:35], v[30:31] op_sel:[0,0,1] op_sel_hi:[0,1,0]
	v_pk_fma_f32 v[34:35], v[26:27], v[38:39], v[46:47] op_sel:[0,0,1] op_sel_hi:[1,1,0] neg_lo:[0,0,1] neg_hi:[0,0,1]
	v_pk_fma_f32 v[14:15], v[26:27], v[38:39], v[46:47] op_sel:[0,0,1] op_sel_hi:[0,1,0]
	;; [unrolled: 2-line block ×4, first 2 shown]
	v_pk_mul_f32 v[28:29], v[28:29], v[70:71] op_sel_hi:[0,1]
	v_mov_b32_e32 v0, v81
	v_pk_mul_f32 v[26:27], v[6:7], v[80:81]
	v_pk_mul_f32 v[72:73], v[72:73], v[58:59] op_sel_hi:[0,1]
	v_pk_mul_f32 v[74:75], v[74:75], v[56:57] op_sel_hi:[0,1]
	v_pk_fma_f32 v[30:31], v[12:13], v[32:33], v[76:77] op_sel:[0,0,1] op_sel_hi:[1,1,0] neg_lo:[0,0,1] neg_hi:[0,0,1]
	v_pk_fma_f32 v[12:13], v[12:13], v[32:33], v[76:77] op_sel:[0,0,1] op_sel_hi:[0,1,0]
	v_pk_fma_f32 v[54:55], v[54:55], v[70:71], v[28:29] op_sel:[0,0,1] op_sel_hi:[1,1,0] neg_lo:[0,0,1] neg_hi:[0,0,1]
	v_pk_fma_f32 v[28:29], v[60:61], v[70:71], v[28:29] op_sel:[0,0,1] op_sel_hi:[0,1,0]
	v_pk_fma_f32 v[60:61], v[6:7], v[68:69], v[0:1]
	v_pk_fma_f32 v[62:63], v[44:45], v[68:69], v[26:27] op_sel_hi:[0,1,1] neg_lo:[0,0,1] neg_hi:[0,0,1]
	v_pk_fma_f32 v[48:49], v[2:3], v[58:59], v[72:73] op_sel:[0,0,1] op_sel_hi:[1,1,0] neg_lo:[0,0,1] neg_hi:[0,0,1]
	v_pk_fma_f32 v[2:3], v[2:3], v[58:59], v[72:73] op_sel:[0,0,1] op_sel_hi:[0,1,0]
	v_pk_fma_f32 v[52:53], v[8:9], v[56:57], v[74:75] op_sel:[0,0,1] op_sel_hi:[1,1,0] neg_lo:[0,0,1] neg_hi:[0,0,1]
	v_pk_fma_f32 v[8:9], v[8:9], v[56:57], v[74:75] op_sel:[0,0,1] op_sel_hi:[0,1,0]
	v_mov_b32_e32 v55, v29
	v_mov_b32_e32 v31, v13
	;; [unrolled: 1-line block ×5, first 2 shown]
	v_pk_add_f32 v[6:7], v[62:63], v[40:41] neg_lo:[0,1] neg_hi:[0,1]
	v_pk_add_f32 v[68:69], v[62:63], v[40:41]
	v_pk_fma_f32 v[32:33], v[10:11], v[36:37], v[78:79] op_sel:[0,0,1] op_sel_hi:[1,1,0] neg_lo:[0,0,1] neg_hi:[0,0,1]
	v_pk_fma_f32 v[10:11], v[10:11], v[36:37], v[78:79] op_sel:[0,0,1] op_sel_hi:[0,1,0]
	v_mov_b32_e32 v53, v9
	v_mov_b32_e32 v49, v3
	v_pk_add_f32 v[2:3], v[54:55], v[30:31]
	v_pk_add_f32 v[8:9], v[54:55], v[30:31] neg_lo:[0,1] neg_hi:[0,1]
	v_pk_add_f32 v[70:71], v[60:61], v[4:5] neg_lo:[0,1] neg_hi:[0,1]
	v_pk_add_f32 v[4:5], v[4:5], v[42:43]
	v_mov_b32_e32 v69, v6
	v_mov_b32_e32 v33, v11
	;; [unrolled: 1-line block ×4, first 2 shown]
	v_pk_mul_f32 v[10:11], v[68:69], s[16:17]
	v_mov_b32_e32 v4, v70
	v_mov_b32_e32 v35, v15
	v_mov_b32_e32 v2, v9
	v_pk_mul_f32 v[6:7], v[72:73], s[12:13]
	v_pk_fma_f32 v[14:15], v[70:71], s[0:1], v[10:11] neg_lo:[1,0,0] neg_hi:[1,0,0]
	v_pk_fma_f32 v[12:13], v[4:5], s[0:1], v[10:11]
	v_mov_b32_e32 v51, v1
	v_pk_add_f32 v[0:1], v[46:47], v[34:35]
	v_pk_add_f32 v[26:27], v[46:47], v[34:35] neg_lo:[0,1] neg_hi:[0,1]
	v_pk_fma_f32 v[28:29], v[2:3], s[6:7], v[6:7] neg_lo:[1,0,0] neg_hi:[1,0,0]
	v_pk_fma_f32 v[8:9], v[2:3], s[6:7], v[6:7]
	v_mov_b32_e32 v15, v13
	v_pk_add_f32 v[14:15], v[24:25], v[14:15]
	v_mov_b32_e32 v29, v9
	v_mov_b32_e32 v74, v0
	;; [unrolled: 1-line block ×3, first 2 shown]
	v_pk_add_f32 v[28:29], v[28:29], v[14:15]
	v_pk_mul_f32 v[14:15], v[74:75], s[24:25]
	v_mov_b32_e32 v0, v27
	v_pk_fma_f32 v[36:37], v[0:1], s[8:9], v[14:15] neg_lo:[1,0,0] neg_hi:[1,0,0]
	v_pk_fma_f32 v[26:27], v[0:1], s[8:9], v[14:15]
	v_pk_mul_f32 v[88:89], v[72:73], s[26:27]
	v_mov_b32_e32 v37, v27
	v_pk_add_f32 v[44:45], v[36:37], v[28:29]
	v_pk_add_f32 v[28:29], v[50:51], v[32:33]
	v_pk_add_f32 v[36:37], v[50:51], v[32:33] neg_lo:[0,1] neg_hi:[0,1]
	v_mov_b32_e32 v76, v28
	v_mov_b32_e32 v77, v36
	v_mov_b32_e32 v28, v37
	v_pk_mul_f32 v[38:39], v[76:77], s[26:27]
	v_pk_fma_f32 v[90:91], v[2:3], s[10:11], v[88:89] neg_lo:[1,0,0] neg_hi:[1,0,0]
	v_pk_fma_f32 v[56:57], v[28:29], s[10:11], v[38:39] neg_lo:[1,0,0] neg_hi:[1,0,0]
	v_pk_fma_f32 v[36:37], v[28:29], s[10:11], v[38:39]
	v_pk_fma_f32 v[92:93], v[2:3], s[10:11], v[88:89]
	v_mov_b32_e32 v57, v37
	v_pk_add_f32 v[78:79], v[56:57], v[44:45]
	v_pk_add_f32 v[44:45], v[52:53], v[48:49]
	v_pk_add_f32 v[56:57], v[52:53], v[48:49] neg_lo:[0,1] neg_hi:[0,1]
	v_mov_b32_e32 v80, v44
	v_mov_b32_e32 v81, v56
	v_mov_b32_e32 v44, v57
	v_pk_mul_f32 v[58:59], v[80:81], s[30:31]
	v_mov_b32_e32 v91, v93
	v_pk_fma_f32 v[82:83], v[44:45], s[14:15], v[58:59] neg_lo:[1,0,0] neg_hi:[1,0,0]
	v_pk_fma_f32 v[56:57], v[44:45], s[14:15], v[58:59]
	v_pk_mul_f32 v[106:107], v[72:73], s[28:29]
	v_mov_b32_e32 v83, v57
	v_pk_add_f32 v[78:79], v[82:83], v[78:79]
	v_pk_mul_f32 v[82:83], v[68:69], s[12:13]
	v_pk_fma_f32 v[108:109], v[2:3], s[18:19], v[106:107] neg_lo:[1,0,0] neg_hi:[1,0,0]
	v_pk_fma_f32 v[84:85], v[70:71], s[6:7], v[82:83] neg_lo:[1,0,0] neg_hi:[1,0,0]
	v_pk_fma_f32 v[86:87], v[4:5], s[6:7], v[82:83]
	v_pk_fma_f32 v[110:111], v[2:3], s[18:19], v[106:107]
	v_mov_b32_e32 v85, v87
	v_pk_add_f32 v[84:85], v[24:25], v[84:85]
	v_mov_b32_e32 v109, v111
	v_pk_add_f32 v[84:85], v[90:91], v[84:85]
	v_pk_mul_f32 v[90:91], v[74:75], s[28:29]
	s_mov_b32 s13, 0x3f68dda4
	v_pk_fma_f32 v[94:95], v[0:1], s[18:19], v[90:91] neg_lo:[1,0,0] neg_hi:[1,0,0]
	v_pk_fma_f32 v[96:97], v[0:1], s[18:19], v[90:91]
	s_mov_b32 s28, s13
	v_mov_b32_e32 v95, v97
	v_pk_add_f32 v[84:85], v[94:95], v[84:85]
	v_pk_mul_f32 v[94:95], v[76:77], s[34:35]
	s_mov_b32 s29, s12
	v_pk_fma_f32 v[98:99], v[28:29], s[20:21], v[94:95] neg_lo:[1,0,0] neg_hi:[1,0,0]
	v_pk_fma_f32 v[100:101], v[28:29], s[20:21], v[94:95]
	v_mov_b32_e32 v63, v60
	v_mov_b32_e32 v99, v101
	v_pk_add_f32 v[84:85], v[98:99], v[84:85]
	v_pk_mul_f32 v[98:99], v[80:81], s[36:37]
	v_pk_mul_f32 v[128:129], v[72:73], s[34:35]
	v_pk_fma_f32 v[102:103], v[44:45], s[22:23], v[98:99] neg_lo:[1,0,0] neg_hi:[1,0,0]
	v_pk_fma_f32 v[104:105], v[44:45], s[22:23], v[98:99]
	v_mov_b32_e32 v42, v40
	v_mov_b32_e32 v103, v105
	v_pk_add_f32 v[84:85], v[102:103], v[84:85]
	ds_write2_b64 v17, v[78:79], v[84:85] offset0:24 offset1:48
	v_pk_mul_f32 v[78:79], v[68:69], s[24:25]
	v_pk_add_f32 v[40:41], v[24:25], v[62:63]
	v_pk_fma_f32 v[84:85], v[70:71], s[8:9], v[78:79] neg_lo:[1,0,0] neg_hi:[1,0,0]
	v_pk_fma_f32 v[102:103], v[4:5], s[8:9], v[78:79]
	v_pk_fma_f32 v[130:131], v[2:3], s[20:21], v[128:129] neg_lo:[1,0,0] neg_hi:[1,0,0]
	v_mov_b32_e32 v85, v103
	v_pk_add_f32 v[84:85], v[24:25], v[84:85]
	v_pk_fma_f32 v[132:133], v[2:3], s[20:21], v[128:129]
	v_pk_add_f32 v[84:85], v[108:109], v[84:85]
	v_pk_mul_f32 v[108:109], v[74:75], s[12:13]
	v_pk_add_f32 v[40:41], v[40:41], v[54:55]
	v_pk_fma_f32 v[112:113], v[0:1], s[28:29], v[108:109] neg_lo:[1,0,0] neg_hi:[1,0,0]
	v_pk_fma_f32 v[114:115], v[0:1], s[28:29], v[108:109]
	v_mov_b32_e32 v131, v133
	v_mov_b32_e32 v113, v115
	v_pk_add_f32 v[84:85], v[112:113], v[84:85]
	v_pk_mul_f32 v[112:113], v[76:77], s[16:17]
	v_pk_add_f32 v[40:41], v[40:41], v[46:47]
	v_pk_fma_f32 v[116:117], v[28:29], s[0:1], v[112:113] neg_lo:[1,0,0] neg_hi:[1,0,0]
	v_pk_fma_f32 v[118:119], v[28:29], s[0:1], v[112:113]
	v_pk_add_f32 v[40:41], v[40:41], v[50:51]
	v_mov_b32_e32 v117, v119
	v_pk_add_f32 v[84:85], v[116:117], v[84:85]
	v_pk_mul_f32 v[116:117], v[80:81], s[26:27]
	v_pk_add_f32 v[40:41], v[40:41], v[52:53]
	v_pk_fma_f32 v[120:121], v[44:45], s[10:11], v[116:117] neg_lo:[1,0,0] neg_hi:[1,0,0]
	v_pk_fma_f32 v[122:123], v[44:45], s[10:11], v[116:117]
	v_pk_add_f32 v[40:41], v[40:41], v[48:49]
	;; [unrolled: 7-line block ×3, first 2 shown]
	v_mov_b32_e32 v125, v127
	v_pk_add_f32 v[124:125], v[24:25], v[124:125]
	v_pk_add_f32 v[30:31], v[32:33], v[30:31]
	;; [unrolled: 1-line block ×3, first 2 shown]
	v_pk_mul_f32 v[130:131], v[74:75], s[16:17]
	v_pk_add_f32 v[30:31], v[30:31], v[42:43]
	v_pk_fma_f32 v[134:135], v[0:1], s[0:1], v[130:131] neg_lo:[1,0,0] neg_hi:[1,0,0]
	v_pk_fma_f32 v[136:137], v[0:1], s[0:1], v[130:131]
	v_pk_fma_f32 v[32:33], v[0:1], s[0:1], v[130:131] neg_lo:[0,0,1] neg_hi:[0,0,1]
	v_mov_b32_e32 v135, v137
	v_pk_add_f32 v[124:125], v[134:135], v[124:125]
	v_pk_mul_f32 v[134:135], v[76:77], s[30:31]
	v_mov_b32_e32 v137, v33
	v_pk_fma_f32 v[138:139], v[28:29], s[14:15], v[134:135] neg_lo:[1,0,0] neg_hi:[1,0,0]
	v_pk_fma_f32 v[140:141], v[28:29], s[14:15], v[134:135]
	v_pk_fma_f32 v[32:33], v[28:29], s[14:15], v[134:135] neg_lo:[0,0,1] neg_hi:[0,0,1]
	v_mov_b32_e32 v139, v141
	v_pk_add_f32 v[124:125], v[138:139], v[124:125]
	v_pk_mul_f32 v[138:139], v[80:81], s[12:13]
	v_mov_b32_e32 v141, v33
	v_pk_fma_f32 v[142:143], v[44:45], s[28:29], v[138:139] neg_lo:[1,0,0] neg_hi:[1,0,0]
	v_pk_fma_f32 v[144:145], v[44:45], s[28:29], v[138:139]
	v_pk_fma_f32 v[32:33], v[44:45], s[28:29], v[138:139] neg_lo:[0,0,1] neg_hi:[0,0,1]
	v_mov_b32_e32 v143, v145
	ds_write_b64 v64, v[30:31]
	v_pk_fma_f32 v[30:31], v[4:5], s[10:11], v[120:121] neg_lo:[0,0,1] neg_hi:[0,0,1]
	v_mov_b32_e32 v145, v33
	v_pk_fma_f32 v[32:33], v[4:5], s[8:9], v[78:79] neg_lo:[0,0,1] neg_hi:[0,0,1]
	v_mov_b32_e32 v127, v31
	v_pk_fma_f32 v[30:31], v[2:3], s[20:21], v[128:129] neg_lo:[0,0,1] neg_hi:[0,0,1]
	v_mov_b32_e32 v103, v33
	v_pk_fma_f32 v[32:33], v[2:3], s[18:19], v[106:107] neg_lo:[0,0,1] neg_hi:[0,0,1]
	v_mov_b32_e32 v133, v31
	v_pk_add_f32 v[30:31], v[24:25], v[126:127]
	v_mov_b32_e32 v111, v33
	v_pk_add_f32 v[32:33], v[24:25], v[102:103]
	v_pk_fma_f32 v[34:35], v[0:1], s[28:29], v[108:109] neg_lo:[0,0,1] neg_hi:[0,0,1]
	v_pk_add_f32 v[30:31], v[132:133], v[30:31]
	v_pk_add_f32 v[32:33], v[110:111], v[32:33]
	v_mov_b32_e32 v115, v35
	v_pk_fma_f32 v[34:35], v[28:29], s[0:1], v[112:113] neg_lo:[0,0,1] neg_hi:[0,0,1]
	v_pk_add_f32 v[124:125], v[142:143], v[124:125]
	v_pk_mul_f32 v[68:69], v[68:69], s[30:31]
	v_pk_add_f32 v[30:31], v[136:137], v[30:31]
	v_pk_add_f32 v[32:33], v[114:115], v[32:33]
	v_mov_b32_e32 v119, v35
	v_pk_fma_f32 v[34:35], v[44:45], s[10:11], v[116:117] neg_lo:[0,0,1] neg_hi:[0,0,1]
	ds_write2_b64 v17, v[84:85], v[124:125] offset0:72 offset1:96
	v_pk_mul_f32 v[72:73], v[72:73], s[36:37]
	v_pk_fma_f32 v[70:71], v[70:71], s[14:15], v[68:69] neg_lo:[1,0,0] neg_hi:[1,0,0]
	v_pk_fma_f32 v[84:85], v[4:5], s[14:15], v[68:69]
	v_pk_add_f32 v[30:31], v[140:141], v[30:31]
	v_pk_add_f32 v[32:33], v[118:119], v[32:33]
	v_mov_b32_e32 v123, v35
	v_mov_b32_e32 v71, v85
	v_pk_fma_f32 v[124:125], v[2:3], s[22:23], v[72:73] neg_lo:[1,0,0] neg_hi:[1,0,0]
	v_pk_fma_f32 v[142:143], v[2:3], s[22:23], v[72:73]
	v_pk_add_f32 v[30:31], v[144:145], v[30:31]
	v_pk_add_f32 v[32:33], v[122:123], v[32:33]
	;; [unrolled: 1-line block ×3, first 2 shown]
	v_mov_b32_e32 v125, v143
	v_pk_mul_f32 v[74:75], v[74:75], s[26:27]
	v_pk_fma_f32 v[68:69], v[4:5], s[14:15], v[68:69] neg_lo:[0,0,1] neg_hi:[0,0,1]
	ds_write2_b64 v17, v[30:31], v[32:33] offset0:168 offset1:192
	v_pk_fma_f32 v[30:31], v[4:5], s[6:7], v[82:83] neg_lo:[0,0,1] neg_hi:[0,0,1]
	v_pk_fma_f32 v[4:5], v[4:5], s[0:1], v[10:11] neg_lo:[0,0,1] neg_hi:[0,0,1]
	v_pk_add_f32 v[70:71], v[124:125], v[70:71]
	v_pk_fma_f32 v[124:125], v[0:1], s[10:11], v[74:75] neg_lo:[1,0,0] neg_hi:[1,0,0]
	v_pk_fma_f32 v[146:147], v[0:1], s[10:11], v[74:75]
	v_mov_b32_e32 v85, v69
	v_pk_fma_f32 v[68:69], v[2:3], s[22:23], v[72:73] neg_lo:[0,0,1] neg_hi:[0,0,1]
	v_pk_fma_f32 v[32:33], v[2:3], s[10:11], v[88:89] neg_lo:[0,0,1] neg_hi:[0,0,1]
	v_mov_b32_e32 v13, v5
	v_pk_fma_f32 v[2:3], v[2:3], s[6:7], v[6:7] neg_lo:[0,0,1] neg_hi:[0,0,1]
	v_mov_b32_e32 v125, v147
	v_pk_mul_f32 v[76:77], v[76:77], s[12:13]
	v_pk_fma_f32 v[72:73], v[0:1], s[10:11], v[74:75] neg_lo:[0,0,1] neg_hi:[0,0,1]
	v_mov_b32_e32 v87, v31
	v_mov_b32_e32 v93, v33
	v_pk_fma_f32 v[32:33], v[0:1], s[18:19], v[90:91] neg_lo:[0,0,1] neg_hi:[0,0,1]
	v_pk_add_f32 v[4:5], v[24:25], v[12:13]
	v_mov_b32_e32 v9, v3
	v_pk_fma_f32 v[0:1], v[0:1], s[8:9], v[14:15] neg_lo:[0,0,1] neg_hi:[0,0,1]
	v_pk_add_f32 v[70:71], v[124:125], v[70:71]
	v_pk_fma_f32 v[124:125], v[28:29], s[28:29], v[76:77] neg_lo:[1,0,0] neg_hi:[1,0,0]
	v_pk_fma_f32 v[148:149], v[28:29], s[28:29], v[76:77]
	v_mov_b32_e32 v143, v69
	v_pk_add_f32 v[68:69], v[24:25], v[84:85]
	v_pk_add_f32 v[30:31], v[24:25], v[86:87]
	;; [unrolled: 1-line block ×3, first 2 shown]
	v_mov_b32_e32 v27, v1
	v_mov_b32_e32 v125, v149
	v_pk_mul_f32 v[80:81], v[80:81], s[24:25]
	v_pk_add_f32 v[68:69], v[142:143], v[68:69]
	v_mov_b32_e32 v147, v73
	v_pk_fma_f32 v[72:73], v[28:29], s[28:29], v[76:77] neg_lo:[0,0,1] neg_hi:[0,0,1]
	v_pk_add_f32 v[30:31], v[92:93], v[30:31]
	v_mov_b32_e32 v97, v33
	v_pk_fma_f32 v[32:33], v[28:29], s[20:21], v[94:95] neg_lo:[0,0,1] neg_hi:[0,0,1]
	v_pk_add_f32 v[0:1], v[26:27], v[2:3]
	v_pk_fma_f32 v[2:3], v[28:29], s[10:11], v[38:39] neg_lo:[0,0,1] neg_hi:[0,0,1]
	v_pk_add_f32 v[70:71], v[124:125], v[70:71]
	v_pk_fma_f32 v[124:125], v[44:45], s[8:9], v[80:81] neg_lo:[1,0,0] neg_hi:[1,0,0]
	v_pk_fma_f32 v[150:151], v[44:45], s[8:9], v[80:81]
	v_pk_add_f32 v[68:69], v[146:147], v[68:69]
	v_mov_b32_e32 v149, v73
	v_pk_fma_f32 v[72:73], v[44:45], s[8:9], v[80:81] neg_lo:[0,0,1] neg_hi:[0,0,1]
	v_pk_add_f32 v[30:31], v[96:97], v[30:31]
	v_mov_b32_e32 v101, v33
	v_pk_fma_f32 v[32:33], v[44:45], s[22:23], v[98:99] neg_lo:[0,0,1] neg_hi:[0,0,1]
	v_mov_b32_e32 v37, v3
	v_pk_fma_f32 v[2:3], v[44:45], s[14:15], v[58:59] neg_lo:[0,0,1] neg_hi:[0,0,1]
	v_mov_b32_e32 v125, v151
	v_pk_add_f32 v[68:69], v[148:149], v[68:69]
	v_mov_b32_e32 v151, v73
	v_pk_add_f32 v[30:31], v[100:101], v[30:31]
	;; [unrolled: 2-line block ×4, first 2 shown]
	v_pk_add_f32 v[68:69], v[150:151], v[68:69]
	v_pk_add_f32 v[30:31], v[104:105], v[30:31]
	;; [unrolled: 1-line block ×3, first 2 shown]
	ds_write2_b64 v17, v[70:71], v[68:69] offset0:120 offset1:144
	ds_write2_b64 v17, v[30:31], v[0:1] offset0:216 offset1:240
.LBB0_20:
	s_or_b64 exec, exec, s[2:3]
	s_waitcnt lgkmcnt(0)
	s_barrier
	ds_read_b64 v[4:5], v64
	v_sub_u32_e32 v6, v65, v21
	v_cmp_ne_u32_e64 s[0:1], 0, v16
                                        ; implicit-def: $vgpr3
                                        ; implicit-def: $vgpr7
                                        ; implicit-def: $vgpr0_vgpr1
	s_and_saveexec_b64 s[2:3], s[0:1]
	s_xor_b64 s[0:1], exec, s[2:3]
	s_cbranch_execz .LBB0_22
; %bb.21:
	v_mov_b32_e32 v17, 0
	v_lshl_add_u64 v[0:1], v[16:17], 3, s[4:5]
	global_load_dwordx2 v[0:1], v[0:1], off offset:2048
	ds_read_b64 v[2:3], v6 offset:2112
	s_waitcnt lgkmcnt(0)
	v_pk_add_f32 v[8:9], v[2:3], v[4:5]
	v_pk_add_f32 v[2:3], v[4:5], v[2:3] neg_lo:[0,1] neg_hi:[0,1]
	v_pk_mul_f32 v[4:5], v[8:9], 0.5 op_sel_hi:[1,0]
	v_mul_f32_e32 v7, 0.5, v2
	v_mul_f32_e32 v11, 0.5, v3
	s_waitcnt vmcnt(0)
	v_mul_f32_e32 v2, v1, v7
	v_mov_b32_e32 v3, v0
	v_fma_f32 v10, v1, v7, v4
	v_fma_f32 v12, v5, v1, v11
	v_fma_f32 v1, v5, v1, -v11
	v_pk_mul_f32 v[4:5], v[4:5], v[2:3]
	v_pk_fma_f32 v[2:3], v[8:9], 0.5, v[2:3] op_sel_hi:[1,0,1] neg_lo:[0,0,1] neg_hi:[0,0,1]
	v_mov_b32_e32 v11, v5
	v_fma_f32 v3, -v0, v7, v12
	v_fma_f32 v0, -v0, v7, v1
	v_mov_b32_e32 v1, v2
	ds_write_b32 v64, v3 offset:4
	ds_write_b32 v6, v0 offset:2116
	v_add_f32_e32 v7, v5, v10
	v_pk_add_f32 v[2:3], v[0:1], v[10:11] neg_lo:[0,1] neg_hi:[0,1]
	v_mov_b64_e32 v[0:1], v[16:17]
                                        ; implicit-def: $vgpr4_vgpr5
.LBB0_22:
	s_andn2_saveexec_b64 s[0:1], s[0:1]
	s_cbranch_execz .LBB0_24
; %bb.23:
	v_mov_b32_e32 v0, 0
	ds_write_b32 v64, v0 offset:4
	ds_write_b32 v6, v0 offset:2116
	ds_read_b32 v0, v65 offset:1060
	s_waitcnt lgkmcnt(3)
	v_pk_add_f32 v[2:3], v[4:5], v[4:5] op_sel:[0,1] op_sel_hi:[0,1] neg_lo:[0,1] neg_hi:[0,1]
	v_add_f32_e32 v7, v4, v5
	s_waitcnt lgkmcnt(0)
	v_xor_b32_e32 v0, 0x80000000, v0
	ds_write_b32 v65, v0 offset:1060
	v_mov_b64_e32 v[0:1], 0
.LBB0_24:
	s_or_b64 exec, exec, s[0:1]
	v_mov_b32_e32 v23, 0
	s_waitcnt lgkmcnt(0)
	v_lshl_add_u64 v[4:5], v[22:23], 3, s[4:5]
	global_load_dwordx2 v[4:5], v[4:5], off offset:2048
	v_mov_b32_e32 v21, v23
	v_lshl_add_u64 v[8:9], v[20:21], 3, s[4:5]
	global_load_dwordx2 v[8:9], v[8:9], off offset:2048
	s_add_u32 s0, s4, 0x800
	s_addc_u32 s1, s5, 0
	v_lshl_add_u64 v[10:11], v[0:1], 3, s[0:1]
	global_load_dwordx2 v[10:11], v[10:11], off offset:792
	ds_write_b32 v64, v7
	ds_write_b32 v6, v3 offset:2112
	ds_read_b64 v[2:3], v66
	ds_read_b64 v[12:13], v6 offset:1848
	v_mov_b32_e32 v15, 0.5
	v_lshl_add_u32 v7, v20, 3, v65
	v_mov_b32_e32 v20, v15
	s_waitcnt lgkmcnt(0)
	v_pk_add_f32 v[22:23], v[2:3], v[12:13]
	v_pk_add_f32 v[2:3], v[2:3], v[12:13] neg_lo:[0,1] neg_hi:[0,1]
	v_mov_b32_e32 v12, v23
	v_mov_b32_e32 v13, v2
	v_pk_mul_f32 v[12:13], v[12:13], 0.5 op_sel_hi:[1,0]
	s_waitcnt vmcnt(2)
	v_mov_b32_e32 v21, v5
	v_mov_b32_e32 v23, v12
	;; [unrolled: 1-line block ×4, first 2 shown]
	v_pk_mul_f32 v[20:21], v[22:23], v[20:21]
	s_nop 0
	v_pk_fma_f32 v[22:23], v[14:15], v[2:3], v[20:21] neg_lo:[1,0,0] neg_hi:[1,0,0]
	v_pk_fma_f32 v[2:3], v[14:15], v[2:3], v[20:21]
	v_pk_fma_f32 v[20:21], v[4:5], v[12:13], v[22:23] op_sel_hi:[0,1,1] neg_lo:[1,0,0] neg_hi:[1,0,0]
	v_pk_fma_f32 v[22:23], v[4:5], v[12:13], v[2:3] op_sel_hi:[0,1,1]
	v_pk_fma_f32 v[2:3], v[4:5], v[12:13], v[2:3] op_sel_hi:[0,1,1] neg_lo:[1,0,0] neg_hi:[1,0,0]
	v_mov_b32_e32 v23, v3
	ds_write_b64 v66, v[22:23]
	ds_write_b64 v6, v[20:21] offset:1848
	ds_read_b64 v[2:3], v7
	ds_read_b64 v[4:5], v6 offset:1584
	v_mov_b32_e32 v12, v15
	s_waitcnt vmcnt(1)
	v_mov_b32_e32 v13, v9
	v_mov_b32_e32 v14, v9
	s_waitcnt lgkmcnt(0)
	v_pk_add_f32 v[20:21], v[2:3], v[4:5]
	v_pk_add_f32 v[2:3], v[2:3], v[4:5] neg_lo:[0,1] neg_hi:[0,1]
	v_mov_b32_e32 v4, v21
	v_mov_b32_e32 v5, v2
	v_pk_mul_f32 v[4:5], v[4:5], 0.5 op_sel_hi:[1,0]
	s_nop 0
	v_mov_b32_e32 v21, v4
	v_mov_b32_e32 v2, v5
	v_pk_mul_f32 v[12:13], v[20:21], v[12:13]
	s_nop 0
	v_pk_fma_f32 v[20:21], v[14:15], v[2:3], v[12:13] neg_lo:[1,0,0] neg_hi:[1,0,0]
	v_pk_fma_f32 v[2:3], v[14:15], v[2:3], v[12:13]
	v_pk_fma_f32 v[12:13], v[8:9], v[4:5], v[20:21] op_sel_hi:[0,1,1] neg_lo:[1,0,0] neg_hi:[1,0,0]
	v_pk_fma_f32 v[20:21], v[8:9], v[4:5], v[2:3] op_sel_hi:[0,1,1]
	v_pk_fma_f32 v[2:3], v[8:9], v[4:5], v[2:3] op_sel_hi:[0,1,1] neg_lo:[1,0,0] neg_hi:[1,0,0]
	v_mov_b32_e32 v21, v3
	ds_write_b64 v7, v[20:21]
	ds_write_b64 v6, v[12:13] offset:1584
	ds_read_b64 v[2:3], v64 offset:792
	ds_read_b64 v[4:5], v6 offset:1320
	v_mov_b32_e32 v8, v15
	s_waitcnt vmcnt(0)
	v_mov_b32_e32 v9, v11
	v_mov_b32_e32 v14, v11
	s_waitcnt lgkmcnt(0)
	v_pk_add_f32 v[12:13], v[2:3], v[4:5]
	v_pk_add_f32 v[2:3], v[2:3], v[4:5] neg_lo:[0,1] neg_hi:[0,1]
	v_mov_b32_e32 v4, v13
	v_mov_b32_e32 v5, v2
	v_pk_mul_f32 v[4:5], v[4:5], 0.5 op_sel_hi:[1,0]
	s_nop 0
	v_mov_b32_e32 v13, v4
	v_mov_b32_e32 v2, v5
	v_pk_mul_f32 v[8:9], v[12:13], v[8:9]
	s_nop 0
	v_pk_fma_f32 v[12:13], v[14:15], v[2:3], v[8:9] neg_lo:[1,0,0] neg_hi:[1,0,0]
	v_pk_fma_f32 v[2:3], v[14:15], v[2:3], v[8:9]
	v_pk_fma_f32 v[8:9], v[10:11], v[4:5], v[12:13] op_sel_hi:[0,1,1] neg_lo:[1,0,0] neg_hi:[1,0,0]
	v_pk_fma_f32 v[12:13], v[10:11], v[4:5], v[2:3] op_sel_hi:[0,1,1]
	v_pk_fma_f32 v[2:3], v[10:11], v[4:5], v[2:3] op_sel_hi:[0,1,1] neg_lo:[1,0,0] neg_hi:[1,0,0]
	v_mov_b32_e32 v13, v3
	ds_write_b64 v64, v[12:13] offset:792
	ds_write_b64 v6, v[8:9] offset:1320
	s_waitcnt lgkmcnt(0)
	s_barrier
	s_and_saveexec_b64 s[0:1], vcc
	s_cbranch_execz .LBB0_27
; %bb.25:
	ds_read2_b64 v[2:5], v64 offset1:33
	ds_read2_b64 v[6:9], v64 offset0:66 offset1:99
	ds_read2_b64 v[10:13], v64 offset0:132 offset1:165
	v_lshl_add_u64 v[14:15], v[0:1], 3, v[18:19]
	v_cmp_eq_u32_e32 vcc, 32, v16
	s_waitcnt lgkmcnt(2)
	global_store_dwordx2 v[14:15], v[2:3], off
	global_store_dwordx2 v[14:15], v[4:5], off offset:264
	ds_read2_b64 v[0:3], v64 offset0:198 offset1:231
	s_waitcnt lgkmcnt(2)
	global_store_dwordx2 v[14:15], v[6:7], off offset:528
	global_store_dwordx2 v[14:15], v[8:9], off offset:792
	s_waitcnt lgkmcnt(1)
	global_store_dwordx2 v[14:15], v[10:11], off offset:1056
	global_store_dwordx2 v[14:15], v[12:13], off offset:1320
	;; [unrolled: 3-line block ×3, first 2 shown]
	s_and_b64 exec, exec, vcc
	s_cbranch_execz .LBB0_27
; %bb.26:
	ds_read_b64 v[0:1], v64 offset:1856
	s_waitcnt lgkmcnt(0)
	global_store_dwordx2 v[18:19], v[0:1], off offset:2112
.LBB0_27:
	s_endpgm
	.section	.rodata,"a",@progbits
	.p2align	6, 0x0
	.amdhsa_kernel fft_rtc_fwd_len264_factors_8_3_11_wgs_231_tpt_33_sp_ip_CI_unitstride_sbrr_R2C_dirReg
		.amdhsa_group_segment_fixed_size 0
		.amdhsa_private_segment_fixed_size 0
		.amdhsa_kernarg_size 88
		.amdhsa_user_sgpr_count 2
		.amdhsa_user_sgpr_dispatch_ptr 0
		.amdhsa_user_sgpr_queue_ptr 0
		.amdhsa_user_sgpr_kernarg_segment_ptr 1
		.amdhsa_user_sgpr_dispatch_id 0
		.amdhsa_user_sgpr_kernarg_preload_length 0
		.amdhsa_user_sgpr_kernarg_preload_offset 0
		.amdhsa_user_sgpr_private_segment_size 0
		.amdhsa_uses_dynamic_stack 0
		.amdhsa_enable_private_segment 0
		.amdhsa_system_sgpr_workgroup_id_x 1
		.amdhsa_system_sgpr_workgroup_id_y 0
		.amdhsa_system_sgpr_workgroup_id_z 0
		.amdhsa_system_sgpr_workgroup_info 0
		.amdhsa_system_vgpr_workitem_id 0
		.amdhsa_next_free_vgpr 152
		.amdhsa_next_free_sgpr 38
		.amdhsa_accum_offset 152
		.amdhsa_reserve_vcc 1
		.amdhsa_float_round_mode_32 0
		.amdhsa_float_round_mode_16_64 0
		.amdhsa_float_denorm_mode_32 3
		.amdhsa_float_denorm_mode_16_64 3
		.amdhsa_dx10_clamp 1
		.amdhsa_ieee_mode 1
		.amdhsa_fp16_overflow 0
		.amdhsa_tg_split 0
		.amdhsa_exception_fp_ieee_invalid_op 0
		.amdhsa_exception_fp_denorm_src 0
		.amdhsa_exception_fp_ieee_div_zero 0
		.amdhsa_exception_fp_ieee_overflow 0
		.amdhsa_exception_fp_ieee_underflow 0
		.amdhsa_exception_fp_ieee_inexact 0
		.amdhsa_exception_int_div_zero 0
	.end_amdhsa_kernel
	.text
.Lfunc_end0:
	.size	fft_rtc_fwd_len264_factors_8_3_11_wgs_231_tpt_33_sp_ip_CI_unitstride_sbrr_R2C_dirReg, .Lfunc_end0-fft_rtc_fwd_len264_factors_8_3_11_wgs_231_tpt_33_sp_ip_CI_unitstride_sbrr_R2C_dirReg
                                        ; -- End function
	.section	.AMDGPU.csdata,"",@progbits
; Kernel info:
; codeLenInByte = 6108
; NumSgprs: 44
; NumVgprs: 152
; NumAgprs: 0
; TotalNumVgprs: 152
; ScratchSize: 0
; MemoryBound: 0
; FloatMode: 240
; IeeeMode: 1
; LDSByteSize: 0 bytes/workgroup (compile time only)
; SGPRBlocks: 5
; VGPRBlocks: 18
; NumSGPRsForWavesPerEU: 44
; NumVGPRsForWavesPerEU: 152
; AccumOffset: 152
; Occupancy: 3
; WaveLimiterHint : 1
; COMPUTE_PGM_RSRC2:SCRATCH_EN: 0
; COMPUTE_PGM_RSRC2:USER_SGPR: 2
; COMPUTE_PGM_RSRC2:TRAP_HANDLER: 0
; COMPUTE_PGM_RSRC2:TGID_X_EN: 1
; COMPUTE_PGM_RSRC2:TGID_Y_EN: 0
; COMPUTE_PGM_RSRC2:TGID_Z_EN: 0
; COMPUTE_PGM_RSRC2:TIDIG_COMP_CNT: 0
; COMPUTE_PGM_RSRC3_GFX90A:ACCUM_OFFSET: 37
; COMPUTE_PGM_RSRC3_GFX90A:TG_SPLIT: 0
	.text
	.p2alignl 6, 3212836864
	.fill 256, 4, 3212836864
	.type	__hip_cuid_7f9292a47b16e43,@object ; @__hip_cuid_7f9292a47b16e43
	.section	.bss,"aw",@nobits
	.globl	__hip_cuid_7f9292a47b16e43
__hip_cuid_7f9292a47b16e43:
	.byte	0                               ; 0x0
	.size	__hip_cuid_7f9292a47b16e43, 1

	.ident	"AMD clang version 19.0.0git (https://github.com/RadeonOpenCompute/llvm-project roc-6.4.0 25133 c7fe45cf4b819c5991fe208aaa96edf142730f1d)"
	.section	".note.GNU-stack","",@progbits
	.addrsig
	.addrsig_sym __hip_cuid_7f9292a47b16e43
	.amdgpu_metadata
---
amdhsa.kernels:
  - .agpr_count:     0
    .args:
      - .actual_access:  read_only
        .address_space:  global
        .offset:         0
        .size:           8
        .value_kind:     global_buffer
      - .offset:         8
        .size:           8
        .value_kind:     by_value
      - .actual_access:  read_only
        .address_space:  global
        .offset:         16
        .size:           8
        .value_kind:     global_buffer
      - .actual_access:  read_only
        .address_space:  global
        .offset:         24
        .size:           8
        .value_kind:     global_buffer
      - .offset:         32
        .size:           8
        .value_kind:     by_value
      - .actual_access:  read_only
        .address_space:  global
        .offset:         40
        .size:           8
        .value_kind:     global_buffer
      - .actual_access:  read_only
        .address_space:  global
        .offset:         48
        .size:           8
        .value_kind:     global_buffer
      - .offset:         56
        .size:           4
        .value_kind:     by_value
      - .actual_access:  read_only
        .address_space:  global
        .offset:         64
        .size:           8
        .value_kind:     global_buffer
      - .actual_access:  read_only
        .address_space:  global
        .offset:         72
        .size:           8
        .value_kind:     global_buffer
      - .address_space:  global
        .offset:         80
        .size:           8
        .value_kind:     global_buffer
    .group_segment_fixed_size: 0
    .kernarg_segment_align: 8
    .kernarg_segment_size: 88
    .language:       OpenCL C
    .language_version:
      - 2
      - 0
    .max_flat_workgroup_size: 231
    .name:           fft_rtc_fwd_len264_factors_8_3_11_wgs_231_tpt_33_sp_ip_CI_unitstride_sbrr_R2C_dirReg
    .private_segment_fixed_size: 0
    .sgpr_count:     44
    .sgpr_spill_count: 0
    .symbol:         fft_rtc_fwd_len264_factors_8_3_11_wgs_231_tpt_33_sp_ip_CI_unitstride_sbrr_R2C_dirReg.kd
    .uniform_work_group_size: 1
    .uses_dynamic_stack: false
    .vgpr_count:     152
    .vgpr_spill_count: 0
    .wavefront_size: 64
amdhsa.target:   amdgcn-amd-amdhsa--gfx950
amdhsa.version:
  - 1
  - 2
...

	.end_amdgpu_metadata
